;; amdgpu-corpus repo=ROCm/rocFFT kind=compiled arch=gfx906 opt=O3
	.text
	.amdgcn_target "amdgcn-amd-amdhsa--gfx906"
	.amdhsa_code_object_version 6
	.protected	bluestein_single_fwd_len360_dim1_dp_op_CI_CI ; -- Begin function bluestein_single_fwd_len360_dim1_dp_op_CI_CI
	.globl	bluestein_single_fwd_len360_dim1_dp_op_CI_CI
	.p2align	8
	.type	bluestein_single_fwd_len360_dim1_dp_op_CI_CI,@function
bluestein_single_fwd_len360_dim1_dp_op_CI_CI: ; @bluestein_single_fwd_len360_dim1_dp_op_CI_CI
; %bb.0:
	s_load_dwordx4 s[0:3], s[4:5], 0x28
	v_mul_u32_u24_e32 v1, 0x445, v0
	v_lshrrev_b32_e32 v1, 16, v1
	v_lshl_add_u32 v80, s6, 2, v1
	v_mov_b32_e32 v81, 0
	s_waitcnt lgkmcnt(0)
	v_cmp_gt_u64_e32 vcc, s[0:1], v[80:81]
	s_and_saveexec_b64 s[0:1], vcc
	s_cbranch_execz .LBB0_15
; %bb.1:
	s_load_dwordx2 s[14:15], s[4:5], 0x0
	s_load_dwordx2 s[12:13], s[4:5], 0x38
	v_mul_lo_u16_e32 v2, 60, v1
	v_sub_u16_e32 v89, v0, v2
	v_and_b32_e32 v0, 3, v1
	v_mul_u32_u24_e32 v93, 0x168, v0
	v_cmp_gt_u16_e64 s[0:1], 36, v89
	v_lshlrev_b32_e32 v90, 4, v89
	v_lshlrev_b32_e32 v91, 4, v93
	s_and_saveexec_b64 s[6:7], s[0:1]
	s_cbranch_execz .LBB0_3
; %bb.2:
	s_load_dwordx2 s[8:9], s[4:5], 0x18
	v_lshl_add_u32 v85, v89, 4, v91
	v_add_u32_e32 v86, v91, v90
	s_waitcnt lgkmcnt(0)
	s_load_dwordx4 s[8:11], s[8:9], 0x0
	s_waitcnt lgkmcnt(0)
	v_mad_u64_u32 v[0:1], s[16:17], s10, v80, 0
	v_mad_u64_u32 v[2:3], s[16:17], s8, v89, 0
	;; [unrolled: 1-line block ×4, first 2 shown]
	v_mov_b32_e32 v1, v4
	v_lshlrev_b64 v[0:1], 4, v[0:1]
	v_mov_b32_e32 v3, v5
	v_mov_b32_e32 v6, s3
	v_lshlrev_b64 v[2:3], 4, v[2:3]
	v_add_co_u32_e32 v0, vcc, s2, v0
	v_addc_co_u32_e32 v1, vcc, v6, v1, vcc
	v_add_co_u32_e32 v16, vcc, v0, v2
	v_addc_co_u32_e32 v17, vcc, v1, v3, vcc
	v_mov_b32_e32 v0, s15
	v_add_co_u32_e32 v70, vcc, s14, v90
	s_mul_i32 s2, s9, 0x240
	s_mul_hi_u32 s3, s8, 0x240
	v_addc_co_u32_e32 v71, vcc, 0, v0, vcc
	s_add_i32 s2, s3, s2
	s_mul_i32 s3, s8, 0x240
	v_mov_b32_e32 v0, s2
	v_add_co_u32_e32 v18, vcc, s3, v16
	v_addc_co_u32_e32 v19, vcc, v17, v0, vcc
	global_load_dwordx4 v[0:3], v[16:17], off
	global_load_dwordx4 v[4:7], v[18:19], off
	global_load_dwordx4 v[8:11], v90, s[14:15]
	global_load_dwordx4 v[12:15], v90, s[14:15] offset:576
	v_mov_b32_e32 v16, s2
	v_add_co_u32_e32 v32, vcc, s3, v18
	v_addc_co_u32_e32 v33, vcc, v19, v16, vcc
	v_add_co_u32_e32 v34, vcc, s3, v32
	v_addc_co_u32_e32 v35, vcc, v33, v16, vcc
	global_load_dwordx4 v[16:19], v[32:33], off
	global_load_dwordx4 v[20:23], v[34:35], off
	global_load_dwordx4 v[24:27], v90, s[14:15] offset:1152
	global_load_dwordx4 v[28:31], v90, s[14:15] offset:1728
	v_mov_b32_e32 v32, s2
	v_add_co_u32_e32 v36, vcc, s3, v34
	v_addc_co_u32_e32 v37, vcc, v35, v32, vcc
	v_mov_b32_e32 v38, s2
	v_add_co_u32_e32 v48, vcc, s3, v36
	v_addc_co_u32_e32 v49, vcc, v37, v38, vcc
	global_load_dwordx4 v[32:35], v[36:37], off
	v_mov_b32_e32 v50, s2
	v_add_co_u32_e32 v52, vcc, s3, v48
	global_load_dwordx4 v[36:39], v[48:49], off
	global_load_dwordx4 v[40:43], v90, s[14:15] offset:2304
	global_load_dwordx4 v[44:47], v90, s[14:15] offset:2880
	v_addc_co_u32_e32 v53, vcc, v49, v50, vcc
	v_mov_b32_e32 v54, s2
	v_add_co_u32_e32 v64, vcc, s3, v52
	v_addc_co_u32_e32 v65, vcc, v53, v54, vcc
	v_mov_b32_e32 v66, s2
	v_add_co_u32_e32 v68, vcc, s3, v64
	v_addc_co_u32_e32 v69, vcc, v65, v66, vcc
	s_movk_i32 s8, 0x1000
	global_load_dwordx4 v[48:51], v[52:53], off
	v_add_co_u32_e32 v81, vcc, s8, v70
	global_load_dwordx4 v[52:55], v[64:65], off
	global_load_dwordx4 v[56:59], v90, s[14:15] offset:3456
	global_load_dwordx4 v[60:63], v90, s[14:15] offset:4032
	v_addc_co_u32_e32 v82, vcc, 0, v71, vcc
	global_load_dwordx4 v[64:67], v[68:69], off
	v_mov_b32_e32 v70, s2
	v_add_co_u32_e32 v83, vcc, s3, v68
	v_addc_co_u32_e32 v84, vcc, v69, v70, vcc
	global_load_dwordx4 v[68:71], v[81:82], off offset:512
	global_load_dwordx4 v[72:75], v[81:82], off offset:1088
	global_load_dwordx4 v[76:79], v[83:84], off
	s_waitcnt vmcnt(17)
	v_mul_f64 v[81:82], v[2:3], v[10:11]
	v_mul_f64 v[10:11], v[0:1], v[10:11]
	s_waitcnt vmcnt(16)
	v_mul_f64 v[83:84], v[6:7], v[14:15]
	v_mul_f64 v[14:15], v[4:5], v[14:15]
	v_fma_f64 v[0:1], v[0:1], v[8:9], v[81:82]
	v_fma_f64 v[2:3], v[2:3], v[8:9], -v[10:11]
	s_waitcnt vmcnt(13)
	v_mul_f64 v[8:9], v[18:19], v[26:27]
	v_mul_f64 v[10:11], v[16:17], v[26:27]
	v_fma_f64 v[4:5], v[4:5], v[12:13], v[83:84]
	v_fma_f64 v[6:7], v[6:7], v[12:13], -v[14:15]
	s_waitcnt vmcnt(12)
	v_mul_f64 v[12:13], v[22:23], v[30:31]
	v_mul_f64 v[14:15], v[20:21], v[30:31]
	ds_write_b128 v85, v[0:3]
	ds_write_b128 v86, v[4:7] offset:576
	v_fma_f64 v[0:1], v[16:17], v[24:25], v[8:9]
	v_fma_f64 v[2:3], v[18:19], v[24:25], -v[10:11]
	v_fma_f64 v[4:5], v[20:21], v[28:29], v[12:13]
	v_fma_f64 v[6:7], v[22:23], v[28:29], -v[14:15]
	s_waitcnt vmcnt(9)
	v_mul_f64 v[26:27], v[34:35], v[42:43]
	v_mul_f64 v[30:31], v[32:33], v[42:43]
	s_waitcnt vmcnt(8)
	v_mul_f64 v[42:43], v[38:39], v[46:47]
	v_mul_f64 v[46:47], v[36:37], v[46:47]
	v_fma_f64 v[8:9], v[32:33], v[40:41], v[26:27]
	v_fma_f64 v[10:11], v[34:35], v[40:41], -v[30:31]
	v_fma_f64 v[12:13], v[36:37], v[44:45], v[42:43]
	v_fma_f64 v[14:15], v[38:39], v[44:45], -v[46:47]
	s_waitcnt vmcnt(5)
	v_mul_f64 v[16:17], v[50:51], v[58:59]
	v_mul_f64 v[18:19], v[48:49], v[58:59]
	s_waitcnt vmcnt(4)
	v_mul_f64 v[20:21], v[54:55], v[62:63]
	v_mul_f64 v[22:23], v[52:53], v[62:63]
	;; [unrolled: 3-line block ×4, first 2 shown]
	v_fma_f64 v[16:17], v[48:49], v[56:57], v[16:17]
	v_fma_f64 v[18:19], v[50:51], v[56:57], -v[18:19]
	v_fma_f64 v[20:21], v[52:53], v[60:61], v[20:21]
	v_fma_f64 v[22:23], v[54:55], v[60:61], -v[22:23]
	;; [unrolled: 2-line block ×4, first 2 shown]
	ds_write_b128 v86, v[0:3] offset:1152
	ds_write_b128 v86, v[4:7] offset:1728
	;; [unrolled: 1-line block ×8, first 2 shown]
.LBB0_3:
	s_or_b64 exec, exec, s[6:7]
	s_load_dwordx2 s[6:7], s[4:5], 0x20
	s_load_dwordx2 s[2:3], s[4:5], 0x8
	s_waitcnt lgkmcnt(0)
	s_barrier
	s_waitcnt lgkmcnt(0)
                                        ; implicit-def: $vgpr0_vgpr1
                                        ; implicit-def: $vgpr4_vgpr5
                                        ; implicit-def: $vgpr8_vgpr9
                                        ; implicit-def: $vgpr24_vgpr25
                                        ; implicit-def: $vgpr28_vgpr29
                                        ; implicit-def: $vgpr36_vgpr37
                                        ; implicit-def: $vgpr40_vgpr41
                                        ; implicit-def: $vgpr48_vgpr49
                                        ; implicit-def: $vgpr44_vgpr45
                                        ; implicit-def: $vgpr52_vgpr53
	s_and_saveexec_b64 s[4:5], s[0:1]
	s_cbranch_execz .LBB0_5
; %bb.4:
	v_lshl_add_u32 v12, v93, 4, v90
	ds_read_b128 v[0:3], v12
	ds_read_b128 v[4:7], v12 offset:576
	ds_read_b128 v[8:11], v12 offset:1152
	;; [unrolled: 1-line block ×9, first 2 shown]
.LBB0_5:
	s_or_b64 exec, exec, s[4:5]
	s_waitcnt lgkmcnt(3)
	v_add_f64 v[12:13], v[28:29], v[40:41]
	s_waitcnt lgkmcnt(1)
	v_add_f64 v[14:15], v[10:11], -v[46:47]
	v_add_f64 v[16:17], v[8:9], v[44:45]
	s_mov_b32 s4, 0x134454ff
	s_mov_b32 s5, 0x3fee6f0e
	v_add_f64 v[18:19], v[30:31], -v[42:43]
	v_add_f64 v[20:21], v[8:9], -v[28:29]
	v_add_f64 v[22:23], v[44:45], -v[40:41]
	v_fma_f64 v[12:13], v[12:13], -0.5, v[0:1]
	s_mov_b32 s8, 0x4755a5e
	v_fma_f64 v[16:17], v[16:17], -0.5, v[0:1]
	s_mov_b32 s9, 0x3fe2cf23
	s_mov_b32 s11, 0xbfee6f0e
	;; [unrolled: 1-line block ×3, first 2 shown]
	v_add_f64 v[32:33], v[28:29], -v[8:9]
	v_add_f64 v[34:35], v[40:41], -v[44:45]
	v_fma_f64 v[56:57], v[14:15], s[4:5], v[12:13]
	v_add_f64 v[58:59], v[30:31], v[42:43]
	v_fma_f64 v[12:13], v[14:15], s[10:11], v[12:13]
	v_fma_f64 v[60:61], v[18:19], s[10:11], v[16:17]
	v_add_f64 v[62:63], v[10:11], v[46:47]
	v_add_f64 v[20:21], v[20:21], v[22:23]
	s_mov_b32 s18, 0x372fe950
	s_mov_b32 s17, 0xbfe2cf23
	v_fma_f64 v[22:23], v[18:19], s[8:9], v[56:57]
	s_mov_b32 s16, s8
	s_mov_b32 s19, 0x3fd3c6ef
	v_add_f64 v[64:65], v[8:9], -v[44:45]
	v_add_f64 v[32:33], v[32:33], v[34:35]
	v_fma_f64 v[12:13], v[18:19], s[16:17], v[12:13]
	v_fma_f64 v[34:35], v[14:15], s[8:9], v[60:61]
	v_fma_f64 v[66:67], v[58:59], -0.5, v[2:3]
	v_fma_f64 v[56:57], v[20:21], s[18:19], v[22:23]
	v_add_f64 v[22:23], v[28:29], -v[40:41]
	v_fma_f64 v[62:63], v[62:63], -0.5, v[2:3]
	v_add_f64 v[68:69], v[30:31], -v[10:11]
	v_add_f64 v[70:71], v[42:43], -v[46:47]
	v_fma_f64 v[60:61], v[20:21], s[18:19], v[12:13]
	v_fma_f64 v[58:59], v[32:33], s[18:19], v[34:35]
	;; [unrolled: 1-line block ×4, first 2 shown]
	v_add_f64 v[18:19], v[10:11], -v[30:31]
	v_add_f64 v[20:21], v[46:47], -v[42:43]
	v_fma_f64 v[34:35], v[64:65], s[4:5], v[66:67]
	v_fma_f64 v[66:67], v[22:23], s[4:5], v[62:63]
	v_add_f64 v[72:73], v[36:37], v[48:49]
	s_waitcnt lgkmcnt(0)
	v_add_f64 v[74:75], v[26:27], -v[54:55]
	v_fma_f64 v[12:13], v[14:15], s[16:17], v[12:13]
	v_fma_f64 v[14:15], v[22:23], s[16:17], v[16:17]
	v_add_f64 v[76:77], v[24:25], -v[52:53]
	v_add_f64 v[16:17], v[18:19], v[20:21]
	v_fma_f64 v[18:19], v[22:23], s[10:11], v[62:63]
	v_fma_f64 v[20:21], v[22:23], s[8:9], v[34:35]
	;; [unrolled: 1-line block ×3, first 2 shown]
	v_add_f64 v[34:35], v[68:69], v[70:71]
	v_add_f64 v[70:71], v[24:25], v[52:53]
	v_fma_f64 v[72:73], v[72:73], -0.5, v[4:5]
	v_fma_f64 v[62:63], v[32:33], s[18:19], v[12:13]
	v_add_f64 v[32:33], v[52:53], -v[48:49]
	v_fma_f64 v[12:13], v[64:65], s[8:9], v[18:19]
	v_fma_f64 v[64:65], v[16:17], s[18:19], v[14:15]
	;; [unrolled: 1-line block ×4, first 2 shown]
	v_add_f64 v[14:15], v[38:39], -v[50:51]
	v_fma_f64 v[16:17], v[70:71], -0.5, v[4:5]
	v_add_f64 v[20:21], v[38:39], v[50:51]
	v_add_f64 v[22:23], v[26:27], v[54:55]
	v_fma_f64 v[18:19], v[74:75], s[4:5], v[72:73]
	v_fma_f64 v[70:71], v[34:35], s[18:19], v[12:13]
	v_add_f64 v[12:13], v[24:25], -v[36:37]
	v_fma_f64 v[34:35], v[74:75], s[10:11], v[72:73]
	v_add_f64 v[78:79], v[36:37], -v[48:49]
	v_fma_f64 v[72:73], v[14:15], s[10:11], v[16:17]
	v_fma_f64 v[20:21], v[20:21], -0.5, v[6:7]
	v_fma_f64 v[22:23], v[22:23], -0.5, v[6:7]
	v_fma_f64 v[18:19], v[14:15], s[8:9], v[18:19]
	v_add_f64 v[81:82], v[48:49], -v[52:53]
	v_add_f64 v[12:13], v[12:13], v[32:33]
	v_fma_f64 v[32:33], v[14:15], s[16:17], v[34:35]
	v_fma_f64 v[14:15], v[14:15], s[4:5], v[16:17]
	;; [unrolled: 1-line block ×3, first 2 shown]
	v_add_f64 v[72:73], v[36:37], -v[24:25]
	v_fma_f64 v[16:17], v[76:77], s[10:11], v[20:21]
	v_fma_f64 v[83:84], v[78:79], s[4:5], v[22:23]
	v_add_f64 v[85:86], v[38:39], -v[26:27]
	v_add_f64 v[87:88], v[50:51], -v[54:55]
	;; [unrolled: 1-line block ×4, first 2 shown]
	v_fma_f64 v[20:21], v[76:77], s[4:5], v[20:21]
	v_fma_f64 v[22:23], v[78:79], s[10:11], v[22:23]
	v_add_f64 v[72:73], v[72:73], v[81:82]
	v_fma_f64 v[14:15], v[74:75], s[16:17], v[14:15]
	v_fma_f64 v[74:75], v[76:77], s[16:17], v[83:84]
	v_add_f64 v[81:82], v[85:86], v[87:88]
	v_fma_f64 v[16:17], v[78:79], s[16:17], v[16:17]
	v_add_f64 v[83:84], v[94:95], v[96:97]
	v_fma_f64 v[20:21], v[78:79], s[8:9], v[20:21]
	v_fma_f64 v[22:23], v[76:77], s[8:9], v[22:23]
	;; [unrolled: 1-line block ×7, first 2 shown]
	s_mov_b32 s20, 0x9b97f4a8
	v_fma_f64 v[20:21], v[83:84], s[18:19], v[20:21]
	v_fma_f64 v[22:23], v[81:82], s[18:19], v[22:23]
	s_mov_b32 s21, 0x3fe9e377
	v_fma_f64 v[16:17], v[83:84], s[18:19], v[16:17]
	v_mul_f64 v[72:73], v[18:19], s[20:21]
	v_mul_f64 v[74:75], v[34:35], s[4:5]
	;; [unrolled: 1-line block ×8, first 2 shown]
	v_fma_f64 v[72:73], v[16:17], s[8:9], v[72:73]
	v_fma_f64 v[74:75], v[32:33], s[18:19], v[74:75]
	v_fma_f64 v[76:77], v[22:23], s[4:5], -v[76:77]
	v_fma_f64 v[78:79], v[20:21], s[8:9], -v[78:79]
	v_fma_f64 v[81:82], v[16:17], s[20:21], v[18:19]
	v_fma_f64 v[83:84], v[34:35], s[18:19], v[83:84]
	v_fma_f64 v[85:86], v[14:15], s[10:11], -v[85:86]
	v_fma_f64 v[87:88], v[12:13], s[16:17], -v[87:88]
	v_add_f64 v[12:13], v[56:57], -v[72:73]
	v_add_f64 v[16:17], v[58:59], -v[74:75]
	;; [unrolled: 1-line block ×8, first 2 shown]
	v_mul_lo_u16_e32 v92, 10, v89
	s_barrier
	s_and_saveexec_b64 s[4:5], s[0:1]
	s_cbranch_execz .LBB0_7
; %bb.6:
	v_add_f64 v[2:3], v[2:3], v[10:11]
	v_add_f64 v[6:7], v[6:7], v[26:27]
	;; [unrolled: 1-line block ×17, first 2 shown]
	v_add_lshl_u32 v42, v93, v92, 4
	ds_write_b128 v42, v[12:15] offset:96
	v_add_f64 v[36:37], v[8:9], v[46:47]
	v_add_f64 v[38:39], v[24:25], v[54:55]
	;; [unrolled: 1-line block ×7, first 2 shown]
	v_add_f64 v[30:31], v[36:37], -v[38:39]
	v_add_f64 v[38:39], v[36:37], v[38:39]
	v_add_f64 v[36:37], v[28:29], v[40:41]
	v_add_f64 v[28:29], v[28:29], -v[40:41]
	ds_write_b128 v42, v[16:19] offset:112
	ds_write_b128 v42, v[20:23] offset:128
	ds_write_b128 v42, v[24:27] offset:16
	ds_write_b128 v42, v[8:11] offset:32
	ds_write_b128 v42, v[4:7] offset:48
	ds_write_b128 v42, v[0:3] offset:64
	ds_write_b128 v42, v[36:39]
	ds_write_b128 v42, v[28:31] offset:80
	ds_write_b128 v42, v[32:35] offset:144
.LBB0_7:
	s_or_b64 exec, exec, s[4:5]
	s_movk_i32 s8, 0xcd
	v_mul_lo_u16_sdwa v0, v89, s8 dst_sel:DWORD dst_unused:UNUSED_PAD src0_sel:BYTE_0 src1_sel:DWORD
	v_lshrrev_b16_e32 v62, 11, v0
	v_mul_lo_u16_e32 v0, 10, v62
	v_sub_u16_e32 v0, v89, v0
	v_mov_b32_e32 v61, s3
	v_and_b32_e32 v63, 0xff, v0
	s_movk_i32 s10, 0x50
	v_mov_b32_e32 v60, s2
	v_mad_u64_u32 v[36:37], s[2:3], v63, s10, v[60:61]
	s_load_dwordx4 s[4:7], s[6:7], 0x0
	s_waitcnt lgkmcnt(0)
	s_barrier
	global_load_dwordx4 v[0:3], v[36:37], off
	global_load_dwordx4 v[8:11], v[36:37], off offset:16
	global_load_dwordx4 v[4:7], v[36:37], off offset:32
	;; [unrolled: 1-line block ×4, first 2 shown]
	v_add_lshl_u32 v82, v93, v89, 4
	ds_read_b128 v[36:39], v82
	ds_read_b128 v[40:43], v82 offset:960
	ds_read_b128 v[44:47], v82 offset:1920
	;; [unrolled: 1-line block ×5, first 2 shown]
	v_mul_u32_u24_e32 v62, 60, v62
	v_add_u32_e32 v62, v62, v63
	v_add_lshl_u32 v83, v93, v62, 4
	s_mov_b32 s2, 0xe8584caa
	s_mov_b32 s3, 0x3febb67a
	;; [unrolled: 1-line block ×4, first 2 shown]
	v_mad_u64_u32 v[60:61], s[10:11], v89, s10, v[60:61]
	s_waitcnt vmcnt(0) lgkmcnt(0)
	s_barrier
	v_lshl_add_u32 v81, v89, 4, v91
	v_mul_f64 v[62:63], v[42:43], v[2:3]
	v_mul_f64 v[64:65], v[40:41], v[2:3]
	;; [unrolled: 1-line block ×10, first 2 shown]
	v_fma_f64 v[48:49], v[48:49], v[4:5], -v[68:69]
	v_fma_f64 v[50:51], v[50:51], v[4:5], v[70:71]
	v_fma_f64 v[58:59], v[58:59], v[24:25], v[72:73]
	v_fma_f64 v[56:57], v[56:57], v[24:25], -v[74:75]
	v_fma_f64 v[44:45], v[44:45], v[8:9], -v[66:67]
	;; [unrolled: 1-line block ×3, first 2 shown]
	v_fma_f64 v[42:43], v[42:43], v[0:1], v[64:65]
	v_fma_f64 v[46:47], v[46:47], v[8:9], v[76:77]
	v_fma_f64 v[52:53], v[52:53], v[28:29], -v[78:79]
	v_fma_f64 v[54:55], v[54:55], v[28:29], v[84:85]
	v_add_f64 v[62:63], v[50:51], v[58:59]
	v_add_f64 v[64:65], v[48:49], v[56:57]
	;; [unrolled: 1-line block ×3, first 2 shown]
	v_add_f64 v[74:75], v[50:51], -v[58:59]
	v_add_f64 v[76:77], v[48:49], -v[56:57]
	v_add_f64 v[72:73], v[38:39], v[46:47]
	v_add_f64 v[68:69], v[44:45], v[52:53]
	v_add_f64 v[70:71], v[46:47], -v[54:55]
	v_fma_f64 v[62:63], v[62:63], -0.5, v[42:43]
	v_fma_f64 v[64:65], v[64:65], -0.5, v[40:41]
	v_add_f64 v[46:47], v[46:47], v[54:55]
	v_add_f64 v[44:45], v[44:45], -v[52:53]
	v_add_f64 v[40:41], v[40:41], v[48:49]
	v_add_f64 v[42:43], v[42:43], v[50:51]
	;; [unrolled: 1-line block ×3, first 2 shown]
	v_fma_f64 v[36:37], v[68:69], -0.5, v[36:37]
	v_fma_f64 v[50:51], v[76:77], s[8:9], v[62:63]
	v_fma_f64 v[52:53], v[74:75], s[8:9], v[64:65]
	;; [unrolled: 1-line block ×4, first 2 shown]
	v_fma_f64 v[38:39], v[46:47], -0.5, v[38:39]
	v_add_f64 v[42:43], v[42:43], v[58:59]
	v_add_f64 v[40:41], v[40:41], v[56:57]
	;; [unrolled: 1-line block ×3, first 2 shown]
	v_mul_f64 v[46:47], v[50:51], s[2:3]
	v_mul_f64 v[56:57], v[52:53], -0.5
	v_mul_f64 v[58:59], v[64:65], s[8:9]
	v_mul_f64 v[66:67], v[62:63], -0.5
	v_fma_f64 v[68:69], v[70:71], s[2:3], v[36:37]
	v_fma_f64 v[72:73], v[44:45], s[8:9], v[38:39]
	;; [unrolled: 1-line block ×4, first 2 shown]
	v_fma_f64 v[64:65], v[64:65], 0.5, v[46:47]
	v_fma_f64 v[56:57], v[62:63], s[2:3], v[56:57]
	v_fma_f64 v[58:59], v[50:51], 0.5, v[58:59]
	v_fma_f64 v[62:63], v[52:53], s[8:9], v[66:67]
	v_add_f64 v[36:37], v[48:49], v[40:41]
	v_add_f64 v[38:39], v[54:55], v[42:43]
	v_add_f64 v[40:41], v[48:49], -v[40:41]
	v_add_f64 v[42:43], v[54:55], -v[42:43]
	v_add_f64 v[44:45], v[68:69], v[64:65]
	v_add_f64 v[48:49], v[70:71], v[56:57]
	;; [unrolled: 1-line block ×4, first 2 shown]
	v_add_f64 v[52:53], v[68:69], -v[64:65]
	v_add_f64 v[54:55], v[72:73], -v[58:59]
	;; [unrolled: 1-line block ×4, first 2 shown]
	ds_write_b128 v83, v[36:39]
	ds_write_b128 v83, v[40:43] offset:480
	ds_write_b128 v83, v[44:47] offset:160
	;; [unrolled: 1-line block ×5, first 2 shown]
	s_waitcnt lgkmcnt(0)
	s_barrier
	global_load_dwordx4 v[36:39], v[60:61], off offset:800
	global_load_dwordx4 v[44:47], v[60:61], off offset:816
	;; [unrolled: 1-line block ×5, first 2 shown]
	ds_read_b128 v[56:59], v82 offset:960
	ds_read_b128 v[60:63], v82 offset:1920
	;; [unrolled: 1-line block ×5, first 2 shown]
	s_waitcnt vmcnt(4) lgkmcnt(4)
	v_mul_f64 v[76:77], v[58:59], v[38:39]
	v_mul_f64 v[78:79], v[56:57], v[38:39]
	s_waitcnt vmcnt(2) lgkmcnt(2)
	v_mul_f64 v[86:87], v[66:67], v[42:43]
	v_mul_f64 v[93:94], v[64:65], v[42:43]
	;; [unrolled: 3-line block ×3, first 2 shown]
	v_mul_f64 v[84:85], v[62:63], v[46:47]
	v_mul_f64 v[99:100], v[60:61], v[46:47]
	s_waitcnt vmcnt(0)
	v_mul_f64 v[101:102], v[70:71], v[54:55]
	v_mul_f64 v[103:104], v[68:69], v[54:55]
	v_fma_f64 v[64:65], v[64:65], v[40:41], -v[86:87]
	v_fma_f64 v[66:67], v[66:67], v[40:41], v[93:94]
	v_fma_f64 v[74:75], v[74:75], v[48:49], v[95:96]
	v_fma_f64 v[72:73], v[72:73], v[48:49], -v[97:98]
	v_fma_f64 v[84:85], v[60:61], v[44:45], -v[84:85]
	;; [unrolled: 1-line block ×3, first 2 shown]
	v_fma_f64 v[58:59], v[58:59], v[36:37], v[78:79]
	v_fma_f64 v[86:87], v[62:63], v[44:45], v[99:100]
	ds_read_b128 v[60:63], v82
	v_fma_f64 v[68:69], v[68:69], v[52:53], -v[101:102]
	v_add_f64 v[76:77], v[66:67], v[74:75]
	v_add_f64 v[78:79], v[64:65], v[72:73]
	v_fma_f64 v[70:71], v[70:71], v[52:53], v[103:104]
	s_waitcnt lgkmcnt(0)
	v_add_f64 v[93:94], v[60:61], v[84:85]
	v_add_f64 v[101:102], v[66:67], -v[74:75]
	v_add_f64 v[103:104], v[64:65], -v[72:73]
	v_add_f64 v[99:100], v[62:63], v[86:87]
	v_add_f64 v[95:96], v[84:85], v[68:69]
	v_fma_f64 v[76:77], v[76:77], -0.5, v[58:59]
	v_fma_f64 v[78:79], v[78:79], -0.5, v[56:57]
	v_add_f64 v[97:98], v[86:87], -v[70:71]
	v_add_f64 v[86:87], v[86:87], v[70:71]
	v_add_f64 v[84:85], v[84:85], -v[68:69]
	v_add_f64 v[56:57], v[56:57], v[64:65]
	v_add_f64 v[58:59], v[58:59], v[66:67]
	;; [unrolled: 1-line block ×3, first 2 shown]
	v_fma_f64 v[66:67], v[103:104], s[8:9], v[76:77]
	v_fma_f64 v[68:69], v[101:102], s[8:9], v[78:79]
	;; [unrolled: 1-line block ×4, first 2 shown]
	v_fma_f64 v[60:61], v[95:96], -0.5, v[60:61]
	v_fma_f64 v[62:63], v[86:87], -0.5, v[62:63]
	v_add_f64 v[72:73], v[56:57], v[72:73]
	v_add_f64 v[74:75], v[58:59], v[74:75]
	v_mul_f64 v[56:57], v[66:67], s[2:3]
	v_mul_f64 v[58:59], v[68:69], -0.5
	v_mul_f64 v[86:87], v[78:79], s[8:9]
	v_mul_f64 v[93:94], v[76:77], -0.5
	v_add_f64 v[70:71], v[99:100], v[70:71]
	v_fma_f64 v[95:96], v[97:98], s[2:3], v[60:61]
	v_fma_f64 v[97:98], v[97:98], s[8:9], v[60:61]
	;; [unrolled: 1-line block ×4, first 2 shown]
	v_fma_f64 v[78:79], v[78:79], 0.5, v[56:57]
	v_fma_f64 v[76:77], v[76:77], s[2:3], v[58:59]
	v_fma_f64 v[86:87], v[66:67], 0.5, v[86:87]
	v_fma_f64 v[93:94], v[68:69], s[8:9], v[93:94]
	v_add_f64 v[56:57], v[64:65], v[72:73]
	v_add_f64 v[58:59], v[70:71], v[74:75]
	v_add_f64 v[64:65], v[64:65], -v[72:73]
	v_add_f64 v[66:67], v[70:71], -v[74:75]
	v_add_f64 v[60:61], v[95:96], v[78:79]
	v_add_f64 v[68:69], v[97:98], v[76:77]
	v_add_f64 v[62:63], v[99:100], v[86:87]
	v_add_f64 v[70:71], v[84:85], v[93:94]
	v_add_f64 v[72:73], v[95:96], -v[78:79]
	v_add_f64 v[76:77], v[97:98], -v[76:77]
	;; [unrolled: 1-line block ×4, first 2 shown]
	ds_write_b128 v81, v[56:59]
	ds_write_b128 v81, v[64:67] offset:2880
	ds_write_b128 v81, v[60:63] offset:960
	;; [unrolled: 1-line block ×5, first 2 shown]
	s_waitcnt lgkmcnt(0)
	s_barrier
	s_and_saveexec_b64 s[8:9], s[0:1]
	s_cbranch_execz .LBB0_9
; %bb.8:
	v_mov_b32_e32 v84, s15
	v_add_co_u32_e32 v88, vcc, s14, v90
	v_addc_co_u32_e32 v124, vcc, 0, v84, vcc
	v_add_co_u32_e32 v125, vcc, 0x1680, v88
	v_addc_co_u32_e32 v126, vcc, 0, v124, vcc
	s_movk_i32 s2, 0x2000
	global_load_dwordx4 v[84:87], v[125:126], off offset:576
	global_load_dwordx4 v[93:96], v[125:126], off offset:1152
	;; [unrolled: 1-line block ×6, first 2 shown]
	v_add_co_u32_e64 v122, s[2:3], s2, v88
	v_add_co_u32_e32 v121, vcc, 0x1000, v88
	v_addc_co_u32_e64 v123, s[2:3], 0, v124, s[2:3]
	global_load_dwordx4 v[113:116], v[122:123], off offset:2176
	global_load_dwordx4 v[117:120], v[122:123], off offset:2752
	v_addc_co_u32_e32 v122, vcc, 0, v124, vcc
	global_load_dwordx4 v[121:124], v[121:122], off offset:1664
	s_nop 0
	global_load_dwordx4 v[125:128], v[125:126], off offset:4032
	ds_read_b128 v[129:132], v81
	ds_read_b128 v[133:136], v81 offset:576
	ds_read_b128 v[137:140], v81 offset:1152
	;; [unrolled: 1-line block ×9, first 2 shown]
	s_waitcnt vmcnt(9) lgkmcnt(8)
	v_mul_f64 v[169:170], v[135:136], v[86:87]
	v_mul_f64 v[86:87], v[133:134], v[86:87]
	s_waitcnt vmcnt(8) lgkmcnt(7)
	v_mul_f64 v[171:172], v[139:140], v[95:96]
	v_mul_f64 v[95:96], v[137:138], v[95:96]
	;; [unrolled: 3-line block ×8, first 2 shown]
	s_waitcnt vmcnt(1)
	v_mul_f64 v[185:186], v[131:132], v[123:124]
	v_mul_f64 v[123:124], v[129:130], v[123:124]
	s_waitcnt vmcnt(0)
	v_mul_f64 v[187:188], v[159:160], v[127:128]
	v_mul_f64 v[127:128], v[157:158], v[127:128]
	v_fma_f64 v[133:134], v[133:134], v[84:85], -v[169:170]
	v_fma_f64 v[135:136], v[135:136], v[84:85], v[86:87]
	v_fma_f64 v[84:85], v[137:138], v[93:94], -v[171:172]
	v_fma_f64 v[86:87], v[139:140], v[93:94], v[95:96]
	;; [unrolled: 2-line block ×10, first 2 shown]
	ds_write_b128 v81, v[133:136] offset:576
	ds_write_b128 v81, v[84:87] offset:1152
	;; [unrolled: 1-line block ×7, first 2 shown]
	ds_write_b128 v81, v[117:120]
	ds_write_b128 v81, v[121:124] offset:4032
	ds_write_b128 v81, v[113:116] offset:5184
.LBB0_9:
	s_or_b64 exec, exec, s[8:9]
	s_waitcnt lgkmcnt(0)
	s_barrier
	s_and_saveexec_b64 s[2:3], s[0:1]
	s_cbranch_execz .LBB0_11
; %bb.10:
	ds_read_b128 v[56:59], v81
	ds_read_b128 v[60:63], v81 offset:576
	ds_read_b128 v[68:71], v81 offset:1152
	;; [unrolled: 1-line block ×9, first 2 shown]
.LBB0_11:
	s_or_b64 exec, exec, s[2:3]
	s_waitcnt lgkmcnt(0)
	s_barrier
	s_and_saveexec_b64 s[2:3], s[0:1]
	s_cbranch_execz .LBB0_13
; %bb.12:
	v_add_f64 v[99:100], v[76:77], v[16:17]
	v_add_f64 v[84:85], v[74:75], v[14:15]
	;; [unrolled: 1-line block ×3, first 2 shown]
	v_add_f64 v[109:110], v[66:67], -v[34:35]
	s_mov_b32 s8, 0x134454ff
	s_mov_b32 s9, 0xbfee6f0e
	;; [unrolled: 1-line block ×4, first 2 shown]
	v_fma_f64 v[99:100], v[99:100], -0.5, v[60:61]
	v_add_f64 v[95:96], v[68:69], -v[20:21]
	v_fma_f64 v[84:85], v[84:85], -0.5, v[58:59]
	v_add_f64 v[103:104], v[64:65], -v[76:77]
	v_add_f64 v[105:106], v[64:65], -v[32:33]
	v_fma_f64 v[97:98], v[97:98], -0.5, v[62:63]
	v_add_f64 v[107:108], v[32:33], -v[16:17]
	v_add_f64 v[113:114], v[66:67], -v[78:79]
	;; [unrolled: 1-line block ×3, first 2 shown]
	v_fma_f64 v[121:122], v[109:110], s[20:21], v[99:100]
	v_add_f64 v[123:124], v[78:79], -v[18:19]
	s_mov_b32 s10, 0x4755a5e
	s_mov_b32 s11, 0xbfe2cf23
	;; [unrolled: 1-line block ×4, first 2 shown]
	v_add_f64 v[86:87], v[70:71], -v[74:75]
	v_add_f64 v[93:94], v[22:23], -v[14:15]
	;; [unrolled: 1-line block ×3, first 2 shown]
	v_fma_f64 v[111:112], v[95:96], s[8:9], v[84:85]
	v_fma_f64 v[117:118], v[105:106], s[8:9], v[97:98]
	v_add_f64 v[119:120], v[76:77], -v[16:17]
	v_add_f64 v[103:104], v[103:104], v[107:108]
	v_add_f64 v[107:108], v[113:114], v[115:116]
	v_fma_f64 v[115:116], v[123:124], s[18:19], v[121:122]
	v_fma_f64 v[99:100], v[109:110], s[8:9], v[99:100]
	s_mov_b32 s16, 0x372fe950
	s_mov_b32 s17, 0x3fd3c6ef
	v_add_f64 v[93:94], v[86:87], v[93:94]
	v_fma_f64 v[113:114], v[119:120], s[10:11], v[117:118]
	v_fma_f64 v[86:87], v[101:102], s[10:11], v[111:112]
	v_add_f64 v[117:118], v[66:67], v[34:35]
	v_fma_f64 v[111:112], v[103:104], s[16:17], v[115:116]
	v_add_f64 v[115:116], v[64:65], v[32:33]
	v_add_f64 v[125:126], v[70:71], v[22:23]
	v_fma_f64 v[84:85], v[95:96], s[20:21], v[84:85]
	v_fma_f64 v[99:100], v[123:124], s[10:11], v[99:100]
	v_fma_f64 v[97:98], v[105:106], s[20:21], v[97:98]
	v_fma_f64 v[127:128], v[93:94], s[16:17], v[86:87]
	v_fma_f64 v[117:118], v[117:118], -0.5, v[62:63]
	v_add_f64 v[62:63], v[62:63], v[66:67]
	v_fma_f64 v[115:116], v[115:116], -0.5, v[60:61]
	v_fma_f64 v[125:126], v[125:126], -0.5, v[58:59]
	v_fma_f64 v[84:85], v[101:102], s[18:19], v[84:85]
	v_fma_f64 v[99:100], v[103:104], s[16:17], v[99:100]
	;; [unrolled: 1-line block ×3, first 2 shown]
	v_add_f64 v[103:104], v[72:73], v[12:13]
	v_add_f64 v[58:59], v[58:59], v[70:71]
	v_add_f64 v[86:87], v[76:77], -v[64:65]
	v_add_f64 v[129:130], v[16:17], -v[32:33]
	v_fma_f64 v[131:132], v[123:124], s[8:9], v[115:116]
	v_add_f64 v[133:134], v[78:79], -v[66:67]
	v_add_f64 v[139:140], v[74:75], -v[70:71]
	v_fma_f64 v[115:116], v[123:124], s[20:21], v[115:116]
	v_fma_f64 v[93:94], v[93:94], s[16:17], v[84:85]
	v_mul_f64 v[66:67], v[99:100], s[18:19]
	v_fma_f64 v[84:85], v[107:108], s[16:17], v[97:98]
	v_fma_f64 v[97:98], v[103:104], -0.5, v[56:57]
	v_add_f64 v[70:71], v[70:71], -v[22:23]
	v_add_f64 v[58:59], v[58:59], v[74:75]
	v_add_f64 v[62:63], v[62:63], v[78:79]
	;; [unrolled: 1-line block ×3, first 2 shown]
	s_mov_b32 s22, 0x9b97f4a8
	s_mov_b32 s23, 0xbfe9e377
	;; [unrolled: 1-line block ×4, first 2 shown]
	v_fma_f64 v[113:114], v[107:108], s[16:17], v[113:114]
	v_add_f64 v[135:136], v[18:19], -v[34:35]
	v_fma_f64 v[137:138], v[119:120], s[20:21], v[117:118]
	v_add_f64 v[141:142], v[14:15], -v[22:23]
	v_fma_f64 v[143:144], v[101:102], s[20:21], v[125:126]
	v_add_f64 v[129:130], v[86:87], v[129:130]
	v_fma_f64 v[117:118], v[119:120], s[8:9], v[117:118]
	v_fma_f64 v[131:132], v[109:110], s[18:19], v[131:132]
	;; [unrolled: 1-line block ×4, first 2 shown]
	v_add_f64 v[78:79], v[68:69], -v[72:73]
	v_add_f64 v[107:108], v[20:21], -v[12:13]
	v_fma_f64 v[119:120], v[70:71], s[20:21], v[97:98]
	v_add_f64 v[74:75], v[74:75], -v[14:15]
	v_fma_f64 v[123:124], v[84:85], s[26:27], v[66:67]
	v_add_f64 v[66:67], v[58:59], v[14:15]
	v_fma_f64 v[103:104], v[103:104], -0.5, v[56:57]
	v_add_f64 v[62:63], v[62:63], v[18:19]
	v_add_f64 v[56:57], v[56:57], v[68:69]
	;; [unrolled: 1-line block ×4, first 2 shown]
	v_fma_f64 v[135:136], v[105:106], s[10:11], v[137:138]
	v_add_f64 v[137:138], v[139:140], v[141:142]
	v_fma_f64 v[117:118], v[105:106], s[18:19], v[117:118]
	v_fma_f64 v[139:140], v[95:96], s[10:11], v[143:144]
	;; [unrolled: 1-line block ×5, first 2 shown]
	v_add_f64 v[78:79], v[78:79], v[107:108]
	v_fma_f64 v[107:108], v[74:75], s[18:19], v[119:120]
	v_add_f64 v[119:120], v[66:67], v[22:23]
	v_add_f64 v[22:23], v[72:73], -v[68:69]
	v_add_f64 v[66:67], v[12:13], -v[20:21]
	v_fma_f64 v[125:126], v[74:75], s[8:9], v[103:104]
	v_add_f64 v[129:130], v[62:63], v[34:35]
	v_fma_f64 v[34:35], v[74:75], s[20:21], v[103:104]
	v_add_f64 v[56:57], v[56:57], v[72:73]
	v_add_f64 v[60:61], v[60:61], v[76:77]
	v_fma_f64 v[68:69], v[70:71], s[8:9], v[97:98]
	v_fma_f64 v[115:116], v[133:134], s[16:17], v[117:118]
	v_add_f64 v[22:23], v[22:23], v[66:67]
	v_fma_f64 v[64:65], v[70:71], s[18:19], v[125:126]
	v_mul_f64 v[62:63], v[113:114], s[10:11]
	v_fma_f64 v[34:35], v[70:71], s[10:11], v[34:35]
	v_fma_f64 v[135:136], v[133:134], s[16:17], v[135:136]
	v_add_f64 v[56:57], v[56:57], v[12:13]
	v_add_f64 v[16:17], v[60:61], v[16:17]
	v_mul_f64 v[60:61], v[84:85], s[10:11]
	s_mov_b32 s25, 0xbfd3c6ef
	v_fma_f64 v[97:98], v[22:23], s[16:17], v[64:65]
	s_mov_b32 s24, s16
	v_fma_f64 v[64:65], v[22:23], s[16:17], v[34:35]
	v_fma_f64 v[34:35], v[74:75], s[10:11], v[68:69]
	v_mul_f64 v[109:110], v[115:116], s[16:17]
	v_fma_f64 v[76:77], v[111:112], s[22:23], v[62:63]
	v_mul_f64 v[62:63], v[115:116], s[8:9]
	v_mul_f64 v[117:118], v[135:136], s[24:25]
	;; [unrolled: 1-line block ×4, first 2 shown]
	v_add_f64 v[20:21], v[56:57], v[20:21]
	v_add_f64 v[16:17], v[16:17], v[32:33]
	v_fma_f64 v[103:104], v[78:79], s[16:17], v[107:108]
	v_fma_f64 v[78:79], v[78:79], s[16:17], v[34:35]
	;; [unrolled: 1-line block ×10, first 2 shown]
	v_add_f64 v[74:75], v[119:120], v[129:130]
	v_add_f64 v[72:73], v[20:21], v[16:17]
	;; [unrolled: 1-line block ×4, first 2 shown]
	v_add_f64 v[56:57], v[64:65], -v[105:106]
	v_add_f64 v[66:67], v[95:96], v[109:110]
	v_add_f64 v[64:65], v[64:65], v[105:106]
	;; [unrolled: 1-line block ×6, first 2 shown]
	v_add_f64 v[22:23], v[119:120], -v[129:130]
	v_add_f64 v[20:21], v[20:21], -v[16:17]
	v_add_f64 v[18:19], v[93:94], -v[123:124]
	v_add_f64 v[16:17], v[78:79], -v[99:100]
	v_add_f64 v[58:59], v[95:96], -v[109:110]
	v_add_f64 v[84:85], v[103:104], -v[76:77]
	v_lshl_add_u32 v76, v92, 4, v91
	v_add_f64 v[86:87], v[127:128], -v[121:122]
	v_add_f64 v[14:15], v[101:102], -v[117:118]
	;; [unrolled: 1-line block ×3, first 2 shown]
	ds_write_b128 v76, v[72:75]
	ds_write_b128 v76, v[68:71] offset:16
	ds_write_b128 v76, v[64:67] offset:32
	;; [unrolled: 1-line block ×9, first 2 shown]
.LBB0_13:
	s_or_b64 exec, exec, s[2:3]
	s_waitcnt lgkmcnt(0)
	s_barrier
	ds_read_b128 v[12:15], v82 offset:1920
	ds_read_b128 v[16:19], v82 offset:3840
	;; [unrolled: 1-line block ×4, first 2 shown]
	ds_read_b128 v[56:59], v82
	ds_read_b128 v[60:63], v82 offset:960
	s_waitcnt lgkmcnt(5)
	v_mul_f64 v[64:65], v[10:11], v[14:15]
	s_waitcnt lgkmcnt(4)
	v_mul_f64 v[66:67], v[30:31], v[18:19]
	v_mul_f64 v[10:11], v[10:11], v[12:13]
	s_waitcnt lgkmcnt(3)
	v_mul_f64 v[68:69], v[6:7], v[20:21]
	v_mul_f64 v[6:7], v[6:7], v[22:23]
	s_mov_b32 s8, 0xe8584caa
	s_mov_b32 s9, 0xbfebb67a
	;; [unrolled: 1-line block ×3, first 2 shown]
	v_fma_f64 v[12:13], v[8:9], v[12:13], v[64:65]
	v_fma_f64 v[64:65], v[28:29], v[16:17], v[66:67]
	v_mul_f64 v[16:17], v[30:31], v[16:17]
	s_waitcnt lgkmcnt(2)
	v_mul_f64 v[30:31], v[26:27], v[32:33]
	s_waitcnt lgkmcnt(0)
	v_mul_f64 v[66:67], v[2:3], v[60:61]
	v_fma_f64 v[8:9], v[8:9], v[14:15], -v[10:11]
	v_fma_f64 v[10:11], v[4:5], v[22:23], -v[68:69]
	v_mul_f64 v[14:15], v[26:27], v[34:35]
	v_mul_f64 v[2:3], v[2:3], v[62:63]
	v_add_f64 v[22:23], v[12:13], v[64:65]
	v_fma_f64 v[16:17], v[28:29], v[18:19], -v[16:17]
	v_fma_f64 v[18:19], v[24:25], v[34:35], -v[30:31]
	;; [unrolled: 1-line block ×3, first 2 shown]
	v_fma_f64 v[4:5], v[4:5], v[20:21], v[6:7]
	v_add_f64 v[28:29], v[56:57], v[12:13]
	v_fma_f64 v[6:7], v[24:25], v[32:33], v[14:15]
	v_fma_f64 v[0:1], v[0:1], v[60:61], v[2:3]
	v_fma_f64 v[14:15], v[22:23], -0.5, v[56:57]
	v_add_f64 v[20:21], v[8:9], -v[16:17]
	v_add_f64 v[22:23], v[10:11], v[18:19]
	v_add_f64 v[32:33], v[58:59], v[8:9]
	;; [unrolled: 1-line block ×3, first 2 shown]
	s_mov_b32 s2, s8
	v_add_f64 v[2:3], v[4:5], v[6:7]
	v_add_f64 v[30:31], v[4:5], -v[6:7]
	v_add_f64 v[24:25], v[28:29], v[64:65]
	v_fma_f64 v[28:29], v[20:21], s[8:9], v[14:15]
	v_fma_f64 v[22:23], v[22:23], -0.5, v[26:27]
	v_add_f64 v[34:35], v[10:11], -v[18:19]
	v_fma_f64 v[14:15], v[20:21], s[2:3], v[14:15]
	v_fma_f64 v[8:9], v[8:9], -0.5, v[58:59]
	v_fma_f64 v[2:3], v[2:3], -0.5, v[0:1]
	v_add_f64 v[12:13], v[12:13], -v[64:65]
	v_add_f64 v[0:1], v[0:1], v[4:5]
	v_add_f64 v[10:11], v[26:27], v[10:11]
	v_fma_f64 v[20:21], v[30:31], s[2:3], v[22:23]
	v_fma_f64 v[22:23], v[30:31], s[8:9], v[22:23]
	v_add_f64 v[30:31], v[32:33], v[16:17]
	v_fma_f64 v[4:5], v[34:35], s[8:9], v[2:3]
	v_fma_f64 v[2:3], v[34:35], s[2:3], v[2:3]
	;; [unrolled: 1-line block ×4, first 2 shown]
	v_mul_f64 v[16:17], v[20:21], s[8:9]
	v_mul_f64 v[20:21], v[20:21], 0.5
	v_mul_f64 v[32:33], v[22:23], s[8:9]
	v_mul_f64 v[22:23], v[22:23], -0.5
	v_add_f64 v[12:13], v[0:1], v[6:7]
	v_add_f64 v[18:19], v[10:11], v[18:19]
	s_barrier
	v_fma_f64 v[16:17], v[4:5], 0.5, v[16:17]
	v_fma_f64 v[56:57], v[4:5], s[2:3], v[20:21]
	v_fma_f64 v[32:33], v[2:3], -0.5, v[32:33]
	v_fma_f64 v[22:23], v[2:3], s[2:3], v[22:23]
	v_add_f64 v[0:1], v[24:25], v[12:13]
	v_add_f64 v[2:3], v[30:31], v[18:19]
	v_add_f64 v[12:13], v[24:25], -v[12:13]
	v_add_f64 v[4:5], v[28:29], v[16:17]
	v_add_f64 v[6:7], v[26:27], v[56:57]
	;; [unrolled: 1-line block ×4, first 2 shown]
	v_add_f64 v[20:21], v[14:15], -v[32:33]
	v_add_f64 v[14:15], v[30:31], -v[18:19]
	;; [unrolled: 1-line block ×5, first 2 shown]
	ds_write_b128 v83, v[0:3]
	ds_write_b128 v83, v[4:7] offset:160
	ds_write_b128 v83, v[8:11] offset:320
	;; [unrolled: 1-line block ×5, first 2 shown]
	s_waitcnt lgkmcnt(0)
	s_barrier
	ds_read_b128 v[0:3], v82 offset:1920
	ds_read_b128 v[4:7], v82 offset:960
	;; [unrolled: 1-line block ×5, first 2 shown]
	ds_read_b128 v[20:23], v82
	s_waitcnt lgkmcnt(5)
	v_mul_f64 v[24:25], v[46:47], v[2:3]
	s_waitcnt lgkmcnt(3)
	v_mul_f64 v[26:27], v[54:55], v[10:11]
	;; [unrolled: 2-line block ×4, first 2 shown]
	v_mul_f64 v[28:29], v[38:39], v[4:5]
	v_mul_f64 v[34:35], v[42:43], v[14:15]
	v_mul_f64 v[42:43], v[50:51], v[18:19]
	v_fma_f64 v[24:25], v[44:45], v[0:1], v[24:25]
	v_mul_f64 v[0:1], v[46:47], v[0:1]
	v_fma_f64 v[26:27], v[52:53], v[8:9], v[26:27]
	v_mul_f64 v[8:9], v[54:55], v[8:9]
	v_fma_f64 v[14:15], v[40:41], v[14:15], -v[30:31]
	v_fma_f64 v[18:19], v[48:49], v[18:19], -v[32:33]
	v_mul_f64 v[30:31], v[38:39], v[6:7]
	v_fma_f64 v[6:7], v[36:37], v[6:7], -v[28:29]
	s_waitcnt lgkmcnt(0)
	v_add_f64 v[28:29], v[20:21], v[24:25]
	v_fma_f64 v[0:1], v[44:45], v[2:3], -v[0:1]
	v_fma_f64 v[2:3], v[40:41], v[12:13], v[34:35]
	v_add_f64 v[12:13], v[24:25], v[26:27]
	v_fma_f64 v[8:9], v[52:53], v[10:11], -v[8:9]
	v_fma_f64 v[10:11], v[48:49], v[16:17], v[42:43]
	v_add_f64 v[16:17], v[14:15], v[18:19]
	v_fma_f64 v[4:5], v[36:37], v[4:5], v[30:31]
	v_add_f64 v[38:39], v[14:15], -v[18:19]
	v_add_f64 v[34:35], v[22:23], v[0:1]
	v_add_f64 v[28:29], v[28:29], v[26:27]
	v_fma_f64 v[12:13], v[12:13], -0.5, v[20:21]
	v_add_f64 v[20:21], v[0:1], -v[8:9]
	v_add_f64 v[30:31], v[2:3], v[10:11]
	v_fma_f64 v[16:17], v[16:17], -0.5, v[6:7]
	v_add_f64 v[32:33], v[2:3], -v[10:11]
	v_add_f64 v[0:1], v[0:1], v[8:9]
	v_add_f64 v[2:3], v[4:5], v[2:3]
	v_add_f64 v[6:7], v[6:7], v[14:15]
	v_fma_f64 v[36:37], v[20:21], s[8:9], v[12:13]
	v_fma_f64 v[30:31], v[30:31], -0.5, v[4:5]
	v_fma_f64 v[20:21], v[20:21], s[2:3], v[12:13]
	v_fma_f64 v[12:13], v[32:33], s[2:3], v[16:17]
	;; [unrolled: 1-line block ×3, first 2 shown]
	v_add_f64 v[32:33], v[34:35], v[8:9]
	v_fma_f64 v[0:1], v[0:1], -0.5, v[22:23]
	v_add_f64 v[8:9], v[24:25], -v[26:27]
	v_add_f64 v[18:19], v[6:7], v[18:19]
	v_fma_f64 v[4:5], v[38:39], s[8:9], v[30:31]
	v_fma_f64 v[22:23], v[38:39], s[2:3], v[30:31]
	v_mul_f64 v[24:25], v[12:13], s[8:9]
	v_mul_f64 v[12:13], v[12:13], 0.5
	v_mul_f64 v[26:27], v[16:17], s[8:9]
	v_mul_f64 v[14:15], v[16:17], -0.5
	v_add_f64 v[16:17], v[2:3], v[10:11]
	v_fma_f64 v[30:31], v[8:9], s[2:3], v[0:1]
	v_fma_f64 v[34:35], v[8:9], s[8:9], v[0:1]
	v_add_f64 v[2:3], v[32:33], v[18:19]
	v_fma_f64 v[24:25], v[4:5], 0.5, v[24:25]
	v_fma_f64 v[38:39], v[4:5], s[2:3], v[12:13]
	v_fma_f64 v[26:27], v[22:23], -0.5, v[26:27]
	v_fma_f64 v[22:23], v[22:23], s[2:3], v[14:15]
	v_add_f64 v[0:1], v[28:29], v[16:17]
	v_add_f64 v[12:13], v[28:29], -v[16:17]
	v_add_f64 v[14:15], v[32:33], -v[18:19]
	v_add_f64 v[4:5], v[36:37], v[24:25]
	v_add_f64 v[6:7], v[30:31], v[38:39]
	;; [unrolled: 1-line block ×4, first 2 shown]
	v_add_f64 v[16:17], v[36:37], -v[24:25]
	v_add_f64 v[18:19], v[30:31], -v[38:39]
	v_add_f64 v[20:21], v[20:21], -v[26:27]
	v_add_f64 v[22:23], v[34:35], -v[22:23]
	ds_write_b128 v81, v[0:3]
	ds_write_b128 v81, v[4:7] offset:960
	ds_write_b128 v81, v[8:11] offset:1920
	;; [unrolled: 1-line block ×5, first 2 shown]
	s_waitcnt lgkmcnt(0)
	s_barrier
	s_and_b64 exec, exec, s[0:1]
	s_cbranch_execz .LBB0_15
; %bb.14:
	global_load_dwordx4 v[0:3], v90, s[14:15]
	global_load_dwordx4 v[4:7], v90, s[14:15] offset:576
	global_load_dwordx4 v[8:11], v90, s[14:15] offset:1152
	;; [unrolled: 1-line block ×4, first 2 shown]
	ds_read_b128 v[20:23], v81
	ds_read_b128 v[24:27], v81 offset:576
	global_load_dwordx4 v[28:31], v90, s[14:15] offset:2880
	ds_read_b128 v[32:35], v81 offset:1152
	ds_read_b128 v[36:39], v81 offset:1728
	;; [unrolled: 1-line block ×4, first 2 shown]
	global_load_dwordx4 v[48:51], v90, s[14:15] offset:3456
	global_load_dwordx4 v[52:55], v90, s[14:15] offset:4032
	v_mad_u64_u32 v[64:65], s[0:1], s6, v80, 0
	v_mad_u64_u32 v[66:67], s[2:3], s4, v89, 0
	v_mov_b32_e32 v56, s15
	v_add_co_u32_e32 v57, vcc, s14, v90
	s_mul_hi_u32 s6, s4, 0x240
	s_mul_i32 s2, s4, 0x240
	s_movk_i32 s4, 0x1000
	v_addc_co_u32_e32 v56, vcc, 0, v56, vcc
	v_add_co_u32_e32 v68, vcc, s4, v57
	s_mul_i32 s3, s5, 0x240
	v_addc_co_u32_e32 v69, vcc, 0, v56, vcc
	v_mov_b32_e32 v56, v65
	v_mov_b32_e32 v57, v67
	s_add_i32 s3, s6, s3
	v_mad_u64_u32 v[70:71], s[6:7], s7, v80, v[56:57]
	v_mad_u64_u32 v[71:72], s[4:5], s5, v89, v[57:58]
	global_load_dwordx4 v[56:59], v[68:69], off offset:512
	global_load_dwordx4 v[60:63], v[68:69], off offset:1088
	v_mov_b32_e32 v65, v70
	v_lshlrev_b64 v[64:65], 4, v[64:65]
	v_mov_b32_e32 v67, v71
	v_mov_b32_e32 v73, s13
	v_lshlrev_b64 v[66:67], 4, v[66:67]
	v_add_co_u32_e32 v64, vcc, s12, v64
	v_addc_co_u32_e32 v65, vcc, v73, v65, vcc
	v_add_co_u32_e32 v64, vcc, v64, v66
	v_addc_co_u32_e32 v65, vcc, v65, v67, vcc
	v_mov_b32_e32 v74, s3
	v_add_co_u32_e32 v66, vcc, s2, v64
	v_addc_co_u32_e32 v67, vcc, v65, v74, vcc
	v_mov_b32_e32 v75, s3
	v_add_co_u32_e32 v68, vcc, s2, v66
	v_addc_co_u32_e32 v69, vcc, v67, v75, vcc
	v_mov_b32_e32 v76, s3
	v_add_co_u32_e32 v70, vcc, s2, v68
	v_addc_co_u32_e32 v71, vcc, v69, v76, vcc
	s_mov_b32 s0, 0x16c16c17
	s_mov_b32 s1, 0x3f66c16c
	s_waitcnt vmcnt(9) lgkmcnt(5)
	v_mul_f64 v[72:73], v[22:23], v[2:3]
	v_mul_f64 v[2:3], v[20:21], v[2:3]
	s_waitcnt vmcnt(8) lgkmcnt(4)
	v_mul_f64 v[74:75], v[26:27], v[6:7]
	v_mul_f64 v[6:7], v[24:25], v[6:7]
	;; [unrolled: 3-line block ×4, first 2 shown]
	v_fma_f64 v[20:21], v[20:21], v[0:1], v[72:73]
	v_fma_f64 v[2:3], v[0:1], v[22:23], -v[2:3]
	v_fma_f64 v[22:23], v[24:25], v[4:5], v[74:75]
	v_fma_f64 v[6:7], v[4:5], v[26:27], -v[6:7]
	v_fma_f64 v[24:25], v[32:33], v[8:9], v[76:77]
	v_fma_f64 v[10:11], v[8:9], v[34:35], -v[10:11]
	v_fma_f64 v[26:27], v[36:37], v[12:13], v[78:79]
	v_fma_f64 v[14:15], v[12:13], v[38:39], -v[14:15]
	v_mul_f64 v[0:1], v[20:21], s[0:1]
	v_mul_f64 v[2:3], v[2:3], s[0:1]
	v_mul_f64 v[4:5], v[22:23], s[0:1]
	v_mul_f64 v[6:7], v[6:7], s[0:1]
	v_mul_f64 v[8:9], v[24:25], s[0:1]
	v_mul_f64 v[10:11], v[10:11], s[0:1]
	s_waitcnt vmcnt(5) lgkmcnt(1)
	v_mul_f64 v[82:83], v[42:43], v[18:19]
	v_mul_f64 v[18:19], v[40:41], v[18:19]
	;; [unrolled: 1-line block ×4, first 2 shown]
	s_waitcnt vmcnt(4) lgkmcnt(0)
	v_mul_f64 v[20:21], v[46:47], v[30:31]
	v_mul_f64 v[22:23], v[44:45], v[30:31]
	global_store_dwordx4 v[64:65], v[0:3], off
	global_store_dwordx4 v[66:67], v[4:7], off
	;; [unrolled: 1-line block ×4, first 2 shown]
	ds_read_b128 v[0:3], v81 offset:3456
	ds_read_b128 v[4:7], v81 offset:4032
	v_fma_f64 v[32:33], v[40:41], v[16:17], v[82:83]
	v_fma_f64 v[18:19], v[16:17], v[42:43], -v[18:19]
	v_fma_f64 v[8:9], v[44:45], v[28:29], v[20:21]
	v_fma_f64 v[10:11], v[28:29], v[46:47], -v[22:23]
	s_waitcnt vmcnt(7) lgkmcnt(1)
	v_mul_f64 v[12:13], v[2:3], v[50:51]
	v_mul_f64 v[14:15], v[0:1], v[50:51]
	v_mov_b32_e32 v24, s3
	v_add_co_u32_e32 v20, vcc, s2, v70
	v_mul_f64 v[16:17], v[32:33], s[0:1]
	v_mul_f64 v[18:19], v[18:19], s[0:1]
	;; [unrolled: 1-line block ×4, first 2 shown]
	v_fma_f64 v[0:1], v[0:1], v[48:49], v[12:13]
	v_fma_f64 v[2:3], v[48:49], v[2:3], -v[14:15]
	s_waitcnt vmcnt(6) lgkmcnt(0)
	v_mul_f64 v[12:13], v[6:7], v[54:55]
	v_mul_f64 v[14:15], v[4:5], v[54:55]
	v_addc_co_u32_e32 v21, vcc, v71, v24, vcc
	global_store_dwordx4 v[20:21], v[16:19], off
	v_mul_f64 v[0:1], v[0:1], s[0:1]
	v_mov_b32_e32 v17, s3
	v_add_co_u32_e32 v16, vcc, s2, v20
	v_addc_co_u32_e32 v17, vcc, v21, v17, vcc
	global_store_dwordx4 v[16:17], v[8:11], off
	v_fma_f64 v[12:13], v[4:5], v[52:53], v[12:13]
	v_fma_f64 v[14:15], v[52:53], v[6:7], -v[14:15]
	ds_read_b128 v[4:7], v81 offset:4608
	ds_read_b128 v[8:11], v81 offset:5184
	v_mov_b32_e32 v18, s3
	v_add_co_u32_e32 v16, vcc, s2, v16
	v_mul_f64 v[2:3], v[2:3], s[0:1]
	v_addc_co_u32_e32 v17, vcc, v17, v18, vcc
	s_waitcnt vmcnt(7) lgkmcnt(1)
	v_mul_f64 v[18:19], v[6:7], v[58:59]
	v_mul_f64 v[20:21], v[4:5], v[58:59]
	s_waitcnt vmcnt(6) lgkmcnt(0)
	v_mul_f64 v[22:23], v[10:11], v[62:63]
	v_mul_f64 v[24:25], v[8:9], v[62:63]
	global_store_dwordx4 v[16:17], v[0:3], off
	s_nop 0
	v_mul_f64 v[0:1], v[12:13], s[0:1]
	v_mul_f64 v[2:3], v[14:15], s[0:1]
	v_fma_f64 v[4:5], v[4:5], v[56:57], v[18:19]
	v_fma_f64 v[6:7], v[56:57], v[6:7], -v[20:21]
	v_fma_f64 v[8:9], v[8:9], v[60:61], v[22:23]
	v_fma_f64 v[10:11], v[60:61], v[10:11], -v[24:25]
	v_mov_b32_e32 v13, s3
	v_add_co_u32_e32 v12, vcc, s2, v16
	v_addc_co_u32_e32 v13, vcc, v17, v13, vcc
	global_store_dwordx4 v[12:13], v[0:3], off
	v_mov_b32_e32 v14, s3
	v_mul_f64 v[0:1], v[4:5], s[0:1]
	v_mul_f64 v[2:3], v[6:7], s[0:1]
	;; [unrolled: 1-line block ×4, first 2 shown]
	v_add_co_u32_e32 v8, vcc, s2, v12
	v_addc_co_u32_e32 v9, vcc, v13, v14, vcc
	global_store_dwordx4 v[8:9], v[0:3], off
	s_nop 0
	v_mov_b32_e32 v1, s3
	v_add_co_u32_e32 v0, vcc, s2, v8
	v_addc_co_u32_e32 v1, vcc, v9, v1, vcc
	global_store_dwordx4 v[0:1], v[4:7], off
.LBB0_15:
	s_endpgm
	.section	.rodata,"a",@progbits
	.p2align	6, 0x0
	.amdhsa_kernel bluestein_single_fwd_len360_dim1_dp_op_CI_CI
		.amdhsa_group_segment_fixed_size 23040
		.amdhsa_private_segment_fixed_size 0
		.amdhsa_kernarg_size 104
		.amdhsa_user_sgpr_count 6
		.amdhsa_user_sgpr_private_segment_buffer 1
		.amdhsa_user_sgpr_dispatch_ptr 0
		.amdhsa_user_sgpr_queue_ptr 0
		.amdhsa_user_sgpr_kernarg_segment_ptr 1
		.amdhsa_user_sgpr_dispatch_id 0
		.amdhsa_user_sgpr_flat_scratch_init 0
		.amdhsa_user_sgpr_private_segment_size 0
		.amdhsa_uses_dynamic_stack 0
		.amdhsa_system_sgpr_private_segment_wavefront_offset 0
		.amdhsa_system_sgpr_workgroup_id_x 1
		.amdhsa_system_sgpr_workgroup_id_y 0
		.amdhsa_system_sgpr_workgroup_id_z 0
		.amdhsa_system_sgpr_workgroup_info 0
		.amdhsa_system_vgpr_workitem_id 0
		.amdhsa_next_free_vgpr 189
		.amdhsa_next_free_sgpr 28
		.amdhsa_reserve_vcc 1
		.amdhsa_reserve_flat_scratch 0
		.amdhsa_float_round_mode_32 0
		.amdhsa_float_round_mode_16_64 0
		.amdhsa_float_denorm_mode_32 3
		.amdhsa_float_denorm_mode_16_64 3
		.amdhsa_dx10_clamp 1
		.amdhsa_ieee_mode 1
		.amdhsa_fp16_overflow 0
		.amdhsa_exception_fp_ieee_invalid_op 0
		.amdhsa_exception_fp_denorm_src 0
		.amdhsa_exception_fp_ieee_div_zero 0
		.amdhsa_exception_fp_ieee_overflow 0
		.amdhsa_exception_fp_ieee_underflow 0
		.amdhsa_exception_fp_ieee_inexact 0
		.amdhsa_exception_int_div_zero 0
	.end_amdhsa_kernel
	.text
.Lfunc_end0:
	.size	bluestein_single_fwd_len360_dim1_dp_op_CI_CI, .Lfunc_end0-bluestein_single_fwd_len360_dim1_dp_op_CI_CI
                                        ; -- End function
	.section	.AMDGPU.csdata,"",@progbits
; Kernel info:
; codeLenInByte = 8632
; NumSgprs: 32
; NumVgprs: 189
; ScratchSize: 0
; MemoryBound: 0
; FloatMode: 240
; IeeeMode: 1
; LDSByteSize: 23040 bytes/workgroup (compile time only)
; SGPRBlocks: 3
; VGPRBlocks: 47
; NumSGPRsForWavesPerEU: 32
; NumVGPRsForWavesPerEU: 189
; Occupancy: 1
; WaveLimiterHint : 1
; COMPUTE_PGM_RSRC2:SCRATCH_EN: 0
; COMPUTE_PGM_RSRC2:USER_SGPR: 6
; COMPUTE_PGM_RSRC2:TRAP_HANDLER: 0
; COMPUTE_PGM_RSRC2:TGID_X_EN: 1
; COMPUTE_PGM_RSRC2:TGID_Y_EN: 0
; COMPUTE_PGM_RSRC2:TGID_Z_EN: 0
; COMPUTE_PGM_RSRC2:TIDIG_COMP_CNT: 0
	.type	__hip_cuid_952d07cfe4d76871,@object ; @__hip_cuid_952d07cfe4d76871
	.section	.bss,"aw",@nobits
	.globl	__hip_cuid_952d07cfe4d76871
__hip_cuid_952d07cfe4d76871:
	.byte	0                               ; 0x0
	.size	__hip_cuid_952d07cfe4d76871, 1

	.ident	"AMD clang version 19.0.0git (https://github.com/RadeonOpenCompute/llvm-project roc-6.4.0 25133 c7fe45cf4b819c5991fe208aaa96edf142730f1d)"
	.section	".note.GNU-stack","",@progbits
	.addrsig
	.addrsig_sym __hip_cuid_952d07cfe4d76871
	.amdgpu_metadata
---
amdhsa.kernels:
  - .args:
      - .actual_access:  read_only
        .address_space:  global
        .offset:         0
        .size:           8
        .value_kind:     global_buffer
      - .actual_access:  read_only
        .address_space:  global
        .offset:         8
        .size:           8
        .value_kind:     global_buffer
      - .actual_access:  read_only
        .address_space:  global
        .offset:         16
        .size:           8
        .value_kind:     global_buffer
      - .actual_access:  read_only
        .address_space:  global
        .offset:         24
        .size:           8
        .value_kind:     global_buffer
      - .actual_access:  read_only
        .address_space:  global
        .offset:         32
        .size:           8
        .value_kind:     global_buffer
      - .offset:         40
        .size:           8
        .value_kind:     by_value
      - .address_space:  global
        .offset:         48
        .size:           8
        .value_kind:     global_buffer
      - .address_space:  global
        .offset:         56
        .size:           8
        .value_kind:     global_buffer
      - .address_space:  global
        .offset:         64
        .size:           8
        .value_kind:     global_buffer
      - .address_space:  global
        .offset:         72
        .size:           8
        .value_kind:     global_buffer
      - .offset:         80
        .size:           4
        .value_kind:     by_value
      - .address_space:  global
        .offset:         88
        .size:           8
        .value_kind:     global_buffer
      - .address_space:  global
        .offset:         96
        .size:           8
        .value_kind:     global_buffer
    .group_segment_fixed_size: 23040
    .kernarg_segment_align: 8
    .kernarg_segment_size: 104
    .language:       OpenCL C
    .language_version:
      - 2
      - 0
    .max_flat_workgroup_size: 240
    .name:           bluestein_single_fwd_len360_dim1_dp_op_CI_CI
    .private_segment_fixed_size: 0
    .sgpr_count:     32
    .sgpr_spill_count: 0
    .symbol:         bluestein_single_fwd_len360_dim1_dp_op_CI_CI.kd
    .uniform_work_group_size: 1
    .uses_dynamic_stack: false
    .vgpr_count:     189
    .vgpr_spill_count: 0
    .wavefront_size: 64
amdhsa.target:   amdgcn-amd-amdhsa--gfx906
amdhsa.version:
  - 1
  - 2
...

	.end_amdgpu_metadata
